;; amdgpu-corpus repo=ROCm/rocFFT kind=compiled arch=gfx950 opt=O3
	.text
	.amdgcn_target "amdgcn-amd-amdhsa--gfx950"
	.amdhsa_code_object_version 6
	.protected	fft_rtc_back_len1050_factors_2_3_5_5_7_wgs_210_tpt_210_dp_ip_CI_sbrr_dirReg ; -- Begin function fft_rtc_back_len1050_factors_2_3_5_5_7_wgs_210_tpt_210_dp_ip_CI_sbrr_dirReg
	.globl	fft_rtc_back_len1050_factors_2_3_5_5_7_wgs_210_tpt_210_dp_ip_CI_sbrr_dirReg
	.p2align	8
	.type	fft_rtc_back_len1050_factors_2_3_5_5_7_wgs_210_tpt_210_dp_ip_CI_sbrr_dirReg,@function
fft_rtc_back_len1050_factors_2_3_5_5_7_wgs_210_tpt_210_dp_ip_CI_sbrr_dirReg: ; @fft_rtc_back_len1050_factors_2_3_5_5_7_wgs_210_tpt_210_dp_ip_CI_sbrr_dirReg
; %bb.0:
	s_load_dwordx2 s[12:13], s[0:1], 0x18
	s_load_dwordx4 s[4:7], s[0:1], 0x0
	s_load_dwordx2 s[10:11], s[0:1], 0x50
	v_mul_u32_u24_e32 v1, 0x139, v0
	v_add_u32_sdwa v6, s2, v1 dst_sel:DWORD dst_unused:UNUSED_PAD src0_sel:DWORD src1_sel:WORD_1
	s_waitcnt lgkmcnt(0)
	s_load_dwordx2 s[8:9], s[12:13], 0x0
	v_mov_b32_e32 v4, 0
	v_cmp_lt_u64_e64 s[2:3], s[6:7], 2
	v_mov_b32_e32 v7, v4
	s_and_b64 vcc, exec, s[2:3]
	v_mov_b64_e32 v[2:3], 0
	s_cbranch_vccnz .LBB0_8
; %bb.1:
	s_load_dwordx2 s[2:3], s[0:1], 0x10
	s_add_u32 s14, s12, 8
	s_addc_u32 s15, s13, 0
	s_mov_b64 s[16:17], 1
	v_mov_b64_e32 v[2:3], 0
	s_waitcnt lgkmcnt(0)
	s_add_u32 s18, s2, 8
	s_addc_u32 s19, s3, 0
.LBB0_2:                                ; =>This Inner Loop Header: Depth=1
	s_load_dwordx2 s[20:21], s[18:19], 0x0
                                        ; implicit-def: $vgpr8_vgpr9
	s_waitcnt lgkmcnt(0)
	v_or_b32_e32 v5, s21, v7
	v_cmp_ne_u64_e32 vcc, 0, v[4:5]
	s_and_saveexec_b64 s[2:3], vcc
	s_xor_b64 s[22:23], exec, s[2:3]
	s_cbranch_execz .LBB0_4
; %bb.3:                                ;   in Loop: Header=BB0_2 Depth=1
	v_cvt_f32_u32_e32 v1, s20
	v_cvt_f32_u32_e32 v5, s21
	s_sub_u32 s2, 0, s20
	s_subb_u32 s3, 0, s21
	v_fmac_f32_e32 v1, 0x4f800000, v5
	v_rcp_f32_e32 v1, v1
	s_nop 0
	v_mul_f32_e32 v1, 0x5f7ffffc, v1
	v_mul_f32_e32 v5, 0x2f800000, v1
	v_trunc_f32_e32 v5, v5
	v_fmac_f32_e32 v1, 0xcf800000, v5
	v_cvt_u32_f32_e32 v5, v5
	v_cvt_u32_f32_e32 v1, v1
	v_mul_lo_u32 v8, s2, v5
	v_mul_hi_u32 v10, s2, v1
	v_mul_lo_u32 v9, s3, v1
	v_add_u32_e32 v10, v10, v8
	v_mul_lo_u32 v12, s2, v1
	v_add_u32_e32 v13, v10, v9
	v_mul_hi_u32 v8, v1, v12
	v_mul_hi_u32 v11, v1, v13
	v_mul_lo_u32 v10, v1, v13
	v_mov_b32_e32 v9, v4
	v_lshl_add_u64 v[8:9], v[8:9], 0, v[10:11]
	v_mul_hi_u32 v11, v5, v12
	v_mul_lo_u32 v12, v5, v12
	v_add_co_u32_e32 v8, vcc, v8, v12
	v_mul_hi_u32 v10, v5, v13
	s_nop 0
	v_addc_co_u32_e32 v8, vcc, v9, v11, vcc
	v_mov_b32_e32 v9, v4
	s_nop 0
	v_addc_co_u32_e32 v11, vcc, 0, v10, vcc
	v_mul_lo_u32 v10, v5, v13
	v_lshl_add_u64 v[8:9], v[8:9], 0, v[10:11]
	v_add_co_u32_e32 v1, vcc, v1, v8
	v_mul_lo_u32 v10, s2, v1
	s_nop 0
	v_addc_co_u32_e32 v5, vcc, v5, v9, vcc
	v_mul_lo_u32 v8, s2, v5
	v_mul_hi_u32 v9, s2, v1
	v_add_u32_e32 v8, v9, v8
	v_mul_lo_u32 v9, s3, v1
	v_add_u32_e32 v12, v8, v9
	v_mul_hi_u32 v14, v5, v10
	v_mul_lo_u32 v15, v5, v10
	v_mul_hi_u32 v9, v1, v12
	v_mul_lo_u32 v8, v1, v12
	v_mul_hi_u32 v10, v1, v10
	v_mov_b32_e32 v11, v4
	v_lshl_add_u64 v[8:9], v[10:11], 0, v[8:9]
	v_add_co_u32_e32 v8, vcc, v8, v15
	v_mul_hi_u32 v13, v5, v12
	s_nop 0
	v_addc_co_u32_e32 v8, vcc, v9, v14, vcc
	v_mul_lo_u32 v10, v5, v12
	s_nop 0
	v_addc_co_u32_e32 v11, vcc, 0, v13, vcc
	v_mov_b32_e32 v9, v4
	v_lshl_add_u64 v[8:9], v[8:9], 0, v[10:11]
	v_add_co_u32_e32 v1, vcc, v1, v8
	v_mul_hi_u32 v10, v6, v1
	s_nop 0
	v_addc_co_u32_e32 v5, vcc, v5, v9, vcc
	v_mad_u64_u32 v[8:9], s[2:3], v6, v5, 0
	v_mov_b32_e32 v11, v4
	v_lshl_add_u64 v[8:9], v[10:11], 0, v[8:9]
	v_mad_u64_u32 v[12:13], s[2:3], v7, v1, 0
	v_add_co_u32_e32 v1, vcc, v8, v12
	v_mad_u64_u32 v[10:11], s[2:3], v7, v5, 0
	s_nop 0
	v_addc_co_u32_e32 v8, vcc, v9, v13, vcc
	v_mov_b32_e32 v9, v4
	s_nop 0
	v_addc_co_u32_e32 v11, vcc, 0, v11, vcc
	v_lshl_add_u64 v[8:9], v[8:9], 0, v[10:11]
	v_mul_lo_u32 v1, s21, v8
	v_mul_lo_u32 v5, s20, v9
	v_mad_u64_u32 v[10:11], s[2:3], s20, v8, 0
	v_add3_u32 v1, v11, v5, v1
	v_sub_u32_e32 v5, v7, v1
	v_mov_b32_e32 v11, s21
	v_sub_co_u32_e32 v14, vcc, v6, v10
	v_lshl_add_u64 v[12:13], v[8:9], 0, 1
	s_nop 0
	v_subb_co_u32_e64 v5, s[2:3], v5, v11, vcc
	v_subrev_co_u32_e64 v10, s[2:3], s20, v14
	v_subb_co_u32_e32 v1, vcc, v7, v1, vcc
	s_nop 0
	v_subbrev_co_u32_e64 v5, s[2:3], 0, v5, s[2:3]
	v_cmp_le_u32_e64 s[2:3], s21, v5
	v_cmp_le_u32_e32 vcc, s21, v1
	s_nop 0
	v_cndmask_b32_e64 v11, 0, -1, s[2:3]
	v_cmp_le_u32_e64 s[2:3], s20, v10
	s_nop 1
	v_cndmask_b32_e64 v10, 0, -1, s[2:3]
	v_cmp_eq_u32_e64 s[2:3], s21, v5
	s_nop 1
	v_cndmask_b32_e64 v5, v11, v10, s[2:3]
	v_lshl_add_u64 v[10:11], v[8:9], 0, 2
	v_cmp_ne_u32_e64 s[2:3], 0, v5
	s_nop 1
	v_cndmask_b32_e64 v5, v13, v11, s[2:3]
	v_cndmask_b32_e64 v11, 0, -1, vcc
	v_cmp_le_u32_e32 vcc, s20, v14
	s_nop 1
	v_cndmask_b32_e64 v13, 0, -1, vcc
	v_cmp_eq_u32_e32 vcc, s21, v1
	s_nop 1
	v_cndmask_b32_e32 v1, v11, v13, vcc
	v_cmp_ne_u32_e32 vcc, 0, v1
	v_cndmask_b32_e64 v1, v12, v10, s[2:3]
	s_nop 0
	v_cndmask_b32_e32 v9, v9, v5, vcc
	v_cndmask_b32_e32 v8, v8, v1, vcc
.LBB0_4:                                ;   in Loop: Header=BB0_2 Depth=1
	s_andn2_saveexec_b64 s[2:3], s[22:23]
	s_cbranch_execz .LBB0_6
; %bb.5:                                ;   in Loop: Header=BB0_2 Depth=1
	v_cvt_f32_u32_e32 v1, s20
	s_sub_i32 s22, 0, s20
	v_rcp_iflag_f32_e32 v1, v1
	s_nop 0
	v_mul_f32_e32 v1, 0x4f7ffffe, v1
	v_cvt_u32_f32_e32 v1, v1
	v_mul_lo_u32 v5, s22, v1
	v_mul_hi_u32 v5, v1, v5
	v_add_u32_e32 v1, v1, v5
	v_mul_hi_u32 v1, v6, v1
	v_mul_lo_u32 v5, v1, s20
	v_sub_u32_e32 v5, v6, v5
	v_add_u32_e32 v8, 1, v1
	v_subrev_u32_e32 v9, s20, v5
	v_cmp_le_u32_e32 vcc, s20, v5
	s_nop 1
	v_cndmask_b32_e32 v5, v5, v9, vcc
	v_cndmask_b32_e32 v1, v1, v8, vcc
	v_add_u32_e32 v8, 1, v1
	v_cmp_le_u32_e32 vcc, s20, v5
	v_mov_b32_e32 v9, v4
	s_nop 0
	v_cndmask_b32_e32 v8, v1, v8, vcc
.LBB0_6:                                ;   in Loop: Header=BB0_2 Depth=1
	s_or_b64 exec, exec, s[2:3]
	v_mad_u64_u32 v[10:11], s[2:3], v8, s20, 0
	s_load_dwordx2 s[2:3], s[14:15], 0x0
	v_mul_lo_u32 v1, v9, s20
	v_mul_lo_u32 v5, v8, s21
	v_add3_u32 v1, v11, v5, v1
	v_sub_co_u32_e32 v5, vcc, v6, v10
	s_add_u32 s16, s16, 1
	s_nop 0
	v_subb_co_u32_e32 v1, vcc, v7, v1, vcc
	s_addc_u32 s17, s17, 0
	s_waitcnt lgkmcnt(0)
	v_mul_lo_u32 v1, s2, v1
	v_mul_lo_u32 v6, s3, v5
	v_mad_u64_u32 v[2:3], s[2:3], s2, v5, v[2:3]
	s_add_u32 s14, s14, 8
	v_add3_u32 v3, v6, v3, v1
	s_addc_u32 s15, s15, 0
	v_mov_b64_e32 v[6:7], s[6:7]
	s_add_u32 s18, s18, 8
	v_cmp_ge_u64_e32 vcc, s[16:17], v[6:7]
	s_addc_u32 s19, s19, 0
	s_cbranch_vccnz .LBB0_9
; %bb.7:                                ;   in Loop: Header=BB0_2 Depth=1
	v_mov_b64_e32 v[6:7], v[8:9]
	s_branch .LBB0_2
.LBB0_8:
	v_mov_b64_e32 v[8:9], v[6:7]
.LBB0_9:
	s_lshl_b64 s[2:3], s[6:7], 3
	s_add_u32 s2, s12, s2
	s_addc_u32 s3, s13, s3
	s_load_dwordx2 s[6:7], s[2:3], 0x0
	s_load_dwordx2 s[12:13], s[0:1], 0x20
	s_mov_b32 s2, 0x1381382
                                        ; implicit-def: $vgpr32
	s_waitcnt lgkmcnt(0)
	v_mul_lo_u32 v1, s6, v9
	v_mul_lo_u32 v4, s7, v8
	v_mad_u64_u32 v[2:3], s[0:1], s6, v8, v[2:3]
	v_add3_u32 v3, v4, v3, v1
	v_mul_hi_u32 v1, v0, s2
	v_mul_u32_u24_e32 v1, 0xd2, v1
	v_cmp_gt_u64_e32 vcc, s[12:13], v[8:9]
	v_cmp_le_u64_e64 s[0:1], s[12:13], v[8:9]
	v_sub_u32_e32 v30, v0, v1
	s_and_saveexec_b64 s[2:3], s[0:1]
	s_xor_b64 s[0:1], exec, s[2:3]
; %bb.10:
	v_add_u32_e32 v32, 0xd2, v30
; %bb.11:
	s_or_saveexec_b64 s[2:3], s[0:1]
	v_lshl_add_u64 v[28:29], v[2:3], 4, s[10:11]
                                        ; implicit-def: $vgpr22_vgpr23
                                        ; implicit-def: $vgpr18_vgpr19
                                        ; implicit-def: $vgpr14_vgpr15
                                        ; implicit-def: $vgpr10_vgpr11
                                        ; implicit-def: $vgpr6_vgpr7
                                        ; implicit-def: $vgpr2_vgpr3
	s_xor_b64 exec, exec, s[2:3]
	s_cbranch_execz .LBB0_15
; %bb.12:
	v_mad_u64_u32 v[0:1], s[0:1], s8, v30, 0
	v_mov_b32_e32 v2, v1
	v_mad_u64_u32 v[2:3], s[0:1], s9, v30, v[2:3]
	v_mov_b32_e32 v1, v2
	v_add_u32_e32 v3, 0x20d, v30
	v_lshl_add_u64 v[8:9], v[0:1], 4, v[28:29]
	v_mad_u64_u32 v[0:1], s[0:1], s8, v3, 0
	v_mov_b32_e32 v2, v1
	v_mad_u64_u32 v[2:3], s[0:1], s9, v3, v[2:3]
	v_mov_b32_e32 v1, v2
	v_add_u32_e32 v32, 0xd2, v30
	v_lshl_add_u64 v[10:11], v[0:1], 4, v[28:29]
	global_load_dwordx4 v[0:3], v[8:9], off
	global_load_dwordx4 v[4:7], v[10:11], off
	v_mad_u64_u32 v[8:9], s[0:1], s8, v32, 0
	v_mov_b32_e32 v10, v9
	v_mad_u64_u32 v[10:11], s[0:1], s9, v32, v[10:11]
	v_mov_b32_e32 v9, v10
	v_add_u32_e32 v11, 0x2df, v30
	v_lshl_add_u64 v[16:17], v[8:9], 4, v[28:29]
	v_mad_u64_u32 v[8:9], s[0:1], s8, v11, 0
	v_mov_b32_e32 v10, v9
	v_mad_u64_u32 v[10:11], s[0:1], s9, v11, v[10:11]
	v_mov_b32_e32 v9, v10
	v_lshl_add_u64 v[18:19], v[8:9], 4, v[28:29]
	global_load_dwordx4 v[8:11], v[16:17], off
	global_load_dwordx4 v[12:15], v[18:19], off
	s_movk_i32 s0, 0x69
	v_cmp_gt_u32_e64 s[0:1], s0, v30
                                        ; implicit-def: $vgpr16_vgpr17
                                        ; implicit-def: $vgpr20_vgpr21
	s_and_saveexec_b64 s[6:7], s[0:1]
	s_cbranch_execz .LBB0_14
; %bb.13:
	v_add_u32_e32 v19, 0x1a4, v30
	v_mad_u64_u32 v[16:17], s[0:1], s8, v19, 0
	v_mov_b32_e32 v18, v17
	v_mad_u64_u32 v[18:19], s[0:1], s9, v19, v[18:19]
	v_mov_b32_e32 v17, v18
	v_add_u32_e32 v19, 0x3b1, v30
	v_lshl_add_u64 v[24:25], v[16:17], 4, v[28:29]
	v_mad_u64_u32 v[16:17], s[0:1], s8, v19, 0
	v_mov_b32_e32 v18, v17
	v_mad_u64_u32 v[18:19], s[0:1], s9, v19, v[18:19]
	v_mov_b32_e32 v17, v18
	v_lshl_add_u64 v[26:27], v[16:17], 4, v[28:29]
	global_load_dwordx4 v[16:19], v[24:25], off
	global_load_dwordx4 v[20:23], v[26:27], off
.LBB0_14:
	s_or_b64 exec, exec, s[6:7]
.LBB0_15:
	s_or_b64 exec, exec, s[2:3]
	s_waitcnt vmcnt(2)
	v_add_f64 v[34:35], v[0:1], -v[4:5]
	v_add_f64 v[36:37], v[2:3], -v[6:7]
	s_waitcnt vmcnt(0)
	v_add_f64 v[4:5], v[8:9], -v[12:13]
	v_add_f64 v[6:7], v[10:11], -v[14:15]
	;; [unrolled: 1-line block ×4, first 2 shown]
	s_movk_i32 s0, 0x69
	v_fma_f64 v[38:39], v[0:1], 2.0, -v[34:35]
	v_fma_f64 v[40:41], v[2:3], 2.0, -v[36:37]
	v_fma_f64 v[8:9], v[8:9], 2.0, -v[4:5]
	v_fma_f64 v[10:11], v[10:11], 2.0, -v[6:7]
	v_fma_f64 v[0:1], v[16:17], 2.0, -v[12:13]
	v_fma_f64 v[2:3], v[18:19], 2.0, -v[14:15]
	v_lshl_add_u32 v24, v30, 5, 0
	v_lshl_add_u32 v33, v32, 5, 0
	v_cmp_gt_u32_e64 s[0:1], s0, v30
	ds_write_b128 v24, v[38:41]
	ds_write_b128 v24, v[34:37] offset:16
	ds_write_b128 v33, v[8:11]
	ds_write_b128 v33, v[4:7] offset:16
	s_and_saveexec_b64 s[2:3], s[0:1]
	s_cbranch_execz .LBB0_17
; %bb.16:
	ds_write_b128 v24, v[0:3] offset:13440
	ds_write_b128 v24, v[12:15] offset:13456
.LBB0_17:
	s_or_b64 exec, exec, s[2:3]
	v_lshlrev_b32_e32 v8, 4, v30
	v_sub_u32_e32 v16, v24, v8
	s_waitcnt lgkmcnt(0)
	s_barrier
	v_sub_u32_e32 v25, 0, v8
	ds_read_b128 v[8:11], v16
	ds_read_b128 v[20:23], v16 offset:5600
	ds_read_b128 v[16:19], v16 offset:11200
	s_movk_i32 s0, 0x8c
	v_cmp_gt_u32_e64 s[0:1], s0, v30
	v_add_u32_e32 v31, v24, v25
	v_lshlrev_b32_e32 v34, 4, v32
	s_and_saveexec_b64 s[2:3], s[0:1]
	s_cbranch_execz .LBB0_19
; %bb.18:
	v_sub_u32_e32 v0, v33, v34
	ds_read_b128 v[4:7], v0
	ds_read_b128 v[0:3], v31 offset:8960
	ds_read_b128 v[12:15], v31 offset:14560
.LBB0_19:
	s_or_b64 exec, exec, s[2:3]
	v_and_b32_e32 v35, 1, v30
	v_lshlrev_b32_e32 v24, 5, v35
	global_load_dwordx4 v[36:39], v24, s[4:5]
	global_load_dwordx4 v[40:43], v24, s[4:5] offset:16
	v_lshrrev_b32_e32 v24, 1, v30
	v_mul_u32_u24_e32 v24, 6, v24
	v_or_b32_e32 v24, v24, v35
	v_lshl_add_u32 v52, v24, 4, 0
	s_mov_b32 s6, 0xe8584caa
	s_mov_b32 s7, 0xbfebb67a
	;; [unrolled: 1-line block ×4, first 2 shown]
	s_waitcnt lgkmcnt(0)
	s_barrier
	s_waitcnt vmcnt(1)
	v_mul_f64 v[44:45], v[22:23], v[38:39]
	v_mul_f64 v[46:47], v[20:21], v[38:39]
	s_waitcnt vmcnt(0)
	v_mul_f64 v[48:49], v[18:19], v[42:43]
	v_mul_f64 v[50:51], v[16:17], v[42:43]
	;; [unrolled: 1-line block ×6, first 2 shown]
	v_fmac_f64_e32 v[44:45], v[20:21], v[36:37]
	v_fma_f64 v[20:21], v[22:23], v[36:37], -v[46:47]
	v_fmac_f64_e32 v[48:49], v[16:17], v[40:41]
	v_fmac_f64_e32 v[24:25], v[0:1], v[36:37]
	v_fma_f64 v[16:17], v[2:3], v[36:37], -v[38:39]
	v_fmac_f64_e32 v[26:27], v[12:13], v[40:41]
	v_fma_f64 v[12:13], v[14:15], v[40:41], -v[42:43]
	v_fma_f64 v[22:23], v[18:19], v[40:41], -v[50:51]
	v_add_f64 v[14:15], v[10:11], v[20:21]
	v_add_f64 v[46:47], v[24:25], v[26:27]
	;; [unrolled: 1-line block ×5, first 2 shown]
	v_add_f64 v[42:43], v[20:21], -v[22:23]
	v_add_f64 v[40:41], v[20:21], v[22:23]
	v_add_f64 v[18:19], v[16:17], -v[12:13]
	v_add_f64 v[20:21], v[24:25], -v[26:27]
	v_add_f64 v[38:39], v[14:15], v[22:23]
	v_fma_f64 v[14:15], -0.5, v[46:47], v[4:5]
	v_fma_f64 v[22:23], -0.5, v[50:51], v[6:7]
	v_add_f64 v[44:45], v[44:45], -v[48:49]
	v_add_f64 v[36:37], v[0:1], v[48:49]
	v_fmac_f64_e32 v[8:9], -0.5, v[2:3]
	v_fmac_f64_e32 v[10:11], -0.5, v[40:41]
	v_fma_f64 v[0:1], s[2:3], v[18:19], v[14:15]
	v_fma_f64 v[2:3], s[6:7], v[20:21], v[22:23]
	v_fma_f64 v[40:41], s[6:7], v[42:43], v[8:9]
	v_fmac_f64_e32 v[8:9], s[2:3], v[42:43]
	v_fma_f64 v[42:43], s[2:3], v[44:45], v[10:11]
	v_fmac_f64_e32 v[10:11], s[6:7], v[44:45]
	ds_write_b128 v52, v[36:39]
	ds_write_b128 v52, v[40:43] offset:32
	ds_write_b128 v52, v[8:11] offset:64
	s_and_saveexec_b64 s[6:7], s[0:1]
	s_cbranch_execz .LBB0_21
; %bb.20:
	v_mul_f64 v[10:11], v[18:19], s[2:3]
	v_add_f64 v[6:7], v[6:7], v[16:17]
	v_add_f64 v[4:5], v[4:5], v[24:25]
	;; [unrolled: 1-line block ×3, first 2 shown]
	v_add_f64 v[6:7], v[14:15], -v[10:11]
	v_add_f64 v[10:11], v[4:5], v[26:27]
	v_lshrrev_b32_e32 v4, 1, v32
	v_mul_lo_u32 v4, v4, 6
	v_or_b32_e32 v4, v4, v35
	v_mul_f64 v[8:9], v[20:21], s[2:3]
	v_lshl_add_u32 v4, v4, 4, 0
	v_add_f64 v[8:9], v[8:9], v[22:23]
	ds_write_b128 v4, v[10:13]
	ds_write_b128 v4, v[6:9] offset:32
	ds_write_b128 v4, v[0:3] offset:64
.LBB0_21:
	s_or_b64 exec, exec, s[6:7]
	s_movk_i32 s0, 0xab
	v_mul_lo_u16_sdwa v4, v30, s0 dst_sel:DWORD dst_unused:UNUSED_PAD src0_sel:BYTE_0 src1_sel:DWORD
	v_lshrrev_b16_e32 v60, 10, v4
	v_mul_lo_u16_e32 v4, 6, v60
	v_sub_u16_e32 v61, v30, v4
	v_mov_b32_e32 v62, 6
	v_lshlrev_b32_sdwa v20, v62, v61 dst_sel:DWORD dst_unused:UNUSED_PAD src0_sel:DWORD src1_sel:BYTE_0
	s_waitcnt lgkmcnt(0)
	s_barrier
	global_load_dwordx4 v[4:7], v20, s[4:5] offset:64
	global_load_dwordx4 v[8:11], v20, s[4:5] offset:80
	global_load_dwordx4 v[12:15], v20, s[4:5] offset:96
	global_load_dwordx4 v[16:19], v20, s[4:5] offset:112
	v_sub_u32_e32 v63, v33, v34
	ds_read_b128 v[20:23], v31
	ds_read_b128 v[24:27], v31 offset:6720
	ds_read_b128 v[32:35], v31 offset:10080
	;; [unrolled: 1-line block ×3, first 2 shown]
	ds_read_b128 v[40:43], v63
	s_mov_b32 s2, 0x134454ff
	s_mov_b32 s3, 0xbfee6f0e
	s_mov_b32 s0, 0x4755a5e
	s_mov_b32 s11, 0x3fee6f0e
	s_mov_b32 s10, s2
	s_mov_b32 s1, 0xbfe2cf23
	s_mov_b32 s13, 0x3fe2cf23
	s_mov_b32 s12, s0
	s_mov_b32 s6, 0x372fe950
	s_mov_b32 s7, 0x3fd3c6ef
	s_movk_i32 s14, 0x89
	s_waitcnt lgkmcnt(0)
	s_barrier
	s_waitcnt vmcnt(3)
	v_mul_f64 v[44:45], v[42:43], v[6:7]
	s_waitcnt vmcnt(2)
	v_mul_f64 v[46:47], v[26:27], v[10:11]
	;; [unrolled: 2-line block ×4, first 2 shown]
	v_mul_f64 v[6:7], v[40:41], v[6:7]
	v_mul_f64 v[10:11], v[24:25], v[10:11]
	;; [unrolled: 1-line block ×4, first 2 shown]
	v_fmac_f64_e32 v[44:45], v[40:41], v[4:5]
	v_fmac_f64_e32 v[46:47], v[24:25], v[8:9]
	;; [unrolled: 1-line block ×4, first 2 shown]
	v_fma_f64 v[40:41], v[42:43], v[4:5], -v[6:7]
	v_fma_f64 v[24:25], v[26:27], v[8:9], -v[10:11]
	;; [unrolled: 1-line block ×4, first 2 shown]
	v_add_f64 v[4:5], v[20:21], v[44:45]
	v_add_f64 v[6:7], v[46:47], v[48:49]
	;; [unrolled: 1-line block ×3, first 2 shown]
	v_add_f64 v[18:19], v[24:25], -v[26:27]
	v_add_f64 v[8:9], v[44:45], -v[46:47]
	v_add_f64 v[10:11], v[50:51], -v[48:49]
	v_add_f64 v[16:17], v[46:47], -v[44:45]
	v_add_f64 v[36:37], v[22:23], v[40:41]
	v_add_f64 v[38:39], v[24:25], v[26:27]
	v_add_f64 v[42:43], v[44:45], -v[50:51]
	v_add_f64 v[44:45], v[46:47], -v[48:49]
	v_add_f64 v[56:57], v[40:41], v[32:33]
	v_add_f64 v[46:47], v[4:5], v[46:47]
	v_fma_f64 v[4:5], -0.5, v[6:7], v[20:21]
	v_fmac_f64_e32 v[20:21], -0.5, v[12:13]
	v_add_f64 v[14:15], v[40:41], -v[32:33]
	v_add_f64 v[58:59], v[8:9], v[10:11]
	v_add_f64 v[10:11], v[36:37], v[24:25]
	v_fma_f64 v[6:7], -0.5, v[38:39], v[22:23]
	v_fmac_f64_e32 v[22:23], -0.5, v[56:57]
	v_fma_f64 v[12:13], s[10:11], v[18:19], v[20:21]
	v_fmac_f64_e32 v[20:21], s[2:3], v[18:19]
	v_add_f64 v[52:53], v[40:41], -v[24:25]
	v_add_f64 v[54:55], v[32:33], -v[26:27]
	v_fma_f64 v[8:9], s[2:3], v[14:15], v[4:5]
	v_fmac_f64_e32 v[4:5], s[10:11], v[14:15]
	v_add_f64 v[38:39], v[10:11], v[26:27]
	v_fmac_f64_e32 v[12:13], s[0:1], v[14:15]
	v_fmac_f64_e32 v[20:21], s[12:13], v[14:15]
	v_fma_f64 v[14:15], s[2:3], v[44:45], v[22:23]
	v_add_f64 v[24:25], v[24:25], -v[40:41]
	v_add_f64 v[26:27], v[26:27], -v[32:33]
	v_fmac_f64_e32 v[22:23], s[10:11], v[44:45]
	v_add_f64 v[34:35], v[48:49], -v[50:51]
	v_add_f64 v[36:37], v[52:53], v[54:55]
	v_fmac_f64_e32 v[14:15], s[12:13], v[42:43]
	v_add_f64 v[24:25], v[24:25], v[26:27]
	v_fmac_f64_e32 v[22:23], s[0:1], v[42:43]
	v_mov_b32_e32 v52, 4
	v_add_f64 v[34:35], v[16:17], v[34:35]
	v_add_f64 v[16:17], v[46:47], v[48:49]
	v_fma_f64 v[10:11], s[10:11], v[42:43], v[6:7]
	v_fmac_f64_e32 v[6:7], s[2:3], v[42:43]
	v_fmac_f64_e32 v[4:5], s[12:13], v[18:19]
	v_fmac_f64_e32 v[14:15], s[6:7], v[24:25]
	v_fmac_f64_e32 v[22:23], s[6:7], v[24:25]
	v_mul_u32_u24_e32 v24, 0x1e0, v60
	v_lshlrev_b32_sdwa v25, v52, v61 dst_sel:DWORD dst_unused:UNUSED_PAD src0_sel:DWORD src1_sel:BYTE_0
	v_add_f64 v[16:17], v[16:17], v[50:51]
	v_fmac_f64_e32 v[8:9], s[0:1], v[18:19]
	v_add_f64 v[18:19], v[38:39], v[32:33]
	v_fmac_f64_e32 v[10:11], s[12:13], v[44:45]
	v_fmac_f64_e32 v[6:7], s[0:1], v[44:45]
	;; [unrolled: 1-line block ×3, first 2 shown]
	v_add3_u32 v24, 0, v24, v25
	v_fmac_f64_e32 v[8:9], s[6:7], v[58:59]
	v_fmac_f64_e32 v[12:13], s[6:7], v[34:35]
	;; [unrolled: 1-line block ×5, first 2 shown]
	ds_write_b128 v24, v[16:19]
	ds_write_b128 v24, v[8:11] offset:96
	ds_write_b128 v24, v[12:15] offset:192
	;; [unrolled: 1-line block ×4, first 2 shown]
	v_mul_lo_u16_sdwa v4, v30, s14 dst_sel:DWORD dst_unused:UNUSED_PAD src0_sel:BYTE_0 src1_sel:DWORD
	v_lshrrev_b16_e32 v53, 12, v4
	v_mul_lo_u16_e32 v4, 30, v53
	v_sub_u16_e32 v54, v30, v4
	v_lshlrev_b32_sdwa v8, v62, v54 dst_sel:DWORD dst_unused:UNUSED_PAD src0_sel:DWORD src1_sel:BYTE_0
	s_waitcnt lgkmcnt(0)
	s_barrier
	global_load_dwordx4 v[4:7], v8, s[4:5] offset:448
	global_load_dwordx4 v[12:15], v8, s[4:5] offset:464
	global_load_dwordx4 v[16:19], v8, s[4:5] offset:480
	global_load_dwordx4 v[20:23], v8, s[4:5] offset:496
	ds_read_b128 v[24:27], v63
	ds_read_b128 v[8:11], v31
	ds_read_b128 v[32:35], v31 offset:6720
	ds_read_b128 v[36:39], v31 offset:10080
	;; [unrolled: 1-line block ×3, first 2 shown]
	s_waitcnt lgkmcnt(0)
	s_barrier
	s_waitcnt vmcnt(3)
	v_mul_f64 v[44:45], v[26:27], v[6:7]
	s_waitcnt vmcnt(2)
	v_mul_f64 v[46:47], v[34:35], v[14:15]
	;; [unrolled: 2-line block ×4, first 2 shown]
	v_mul_f64 v[6:7], v[24:25], v[6:7]
	v_mul_f64 v[14:15], v[32:33], v[14:15]
	;; [unrolled: 1-line block ×4, first 2 shown]
	v_fmac_f64_e32 v[44:45], v[24:25], v[4:5]
	v_fmac_f64_e32 v[46:47], v[32:33], v[12:13]
	;; [unrolled: 1-line block ×4, first 2 shown]
	v_fma_f64 v[24:25], v[26:27], v[4:5], -v[6:7]
	v_fma_f64 v[26:27], v[34:35], v[12:13], -v[14:15]
	v_fma_f64 v[32:33], v[38:39], v[16:17], -v[18:19]
	v_fma_f64 v[34:35], v[42:43], v[20:21], -v[22:23]
	v_add_f64 v[6:7], v[46:47], v[48:49]
	v_add_f64 v[22:23], v[44:45], v[50:51]
	;; [unrolled: 1-line block ×3, first 2 shown]
	v_add_f64 v[18:19], v[26:27], -v[32:33]
	v_add_f64 v[12:13], v[44:45], -v[46:47]
	;; [unrolled: 1-line block ×3, first 2 shown]
	v_fma_f64 v[20:21], -0.5, v[6:7], v[8:9]
	v_fmac_f64_e32 v[8:9], -0.5, v[22:23]
	v_add_f64 v[14:15], v[24:25], -v[34:35]
	v_add_f64 v[36:37], v[46:47], -v[44:45]
	v_add_f64 v[38:39], v[48:49], -v[50:51]
	v_add_f64 v[42:43], v[12:13], v[16:17]
	v_fma_f64 v[16:17], s[10:11], v[18:19], v[8:9]
	v_fmac_f64_e32 v[8:9], s[2:3], v[18:19]
	v_add_f64 v[22:23], v[36:37], v[38:39]
	v_fma_f64 v[12:13], s[2:3], v[14:15], v[20:21]
	v_fmac_f64_e32 v[20:21], s[10:11], v[14:15]
	v_fmac_f64_e32 v[16:17], s[0:1], v[14:15]
	;; [unrolled: 1-line block ×3, first 2 shown]
	v_add_f64 v[14:15], v[26:27], v[32:33]
	v_add_f64 v[40:41], v[10:11], v[24:25]
	v_fmac_f64_e32 v[16:17], s[6:7], v[22:23]
	v_fmac_f64_e32 v[8:9], s[6:7], v[22:23]
	v_fma_f64 v[22:23], -0.5, v[14:15], v[10:11]
	v_add_f64 v[36:37], v[44:45], -v[50:51]
	v_add_f64 v[6:7], v[40:41], v[26:27]
	v_fmac_f64_e32 v[12:13], s[0:1], v[18:19]
	v_fmac_f64_e32 v[20:21], s[12:13], v[18:19]
	v_fma_f64 v[14:15], s[10:11], v[36:37], v[22:23]
	v_add_f64 v[38:39], v[46:47], -v[48:49]
	v_add_f64 v[18:19], v[24:25], -v[26:27]
	;; [unrolled: 1-line block ×3, first 2 shown]
	v_fmac_f64_e32 v[22:23], s[2:3], v[36:37]
	v_fmac_f64_e32 v[14:15], s[12:13], v[38:39]
	v_add_f64 v[18:19], v[18:19], v[40:41]
	v_fmac_f64_e32 v[22:23], s[0:1], v[38:39]
	v_fmac_f64_e32 v[14:15], s[6:7], v[18:19]
	;; [unrolled: 1-line block ×3, first 2 shown]
	v_add_f64 v[18:19], v[24:25], v[34:35]
	v_fmac_f64_e32 v[10:11], -0.5, v[18:19]
	v_fma_f64 v[18:19], s[2:3], v[38:39], v[10:11]
	v_add_f64 v[24:25], v[26:27], -v[24:25]
	v_add_f64 v[26:27], v[32:33], -v[34:35]
	v_fmac_f64_e32 v[10:11], s[10:11], v[38:39]
	v_add_f64 v[4:5], v[4:5], v[46:47]
	v_fmac_f64_e32 v[18:19], s[12:13], v[36:37]
	v_add_f64 v[24:25], v[24:25], v[26:27]
	;; [unrolled: 2-line block ×3, first 2 shown]
	v_add_f64 v[6:7], v[6:7], v[32:33]
	v_fmac_f64_e32 v[18:19], s[6:7], v[24:25]
	v_fmac_f64_e32 v[10:11], s[6:7], v[24:25]
	v_mul_u32_u24_e32 v24, 0x960, v53
	v_lshlrev_b32_sdwa v25, v52, v54 dst_sel:DWORD dst_unused:UNUSED_PAD src0_sel:DWORD src1_sel:BYTE_0
	s_movk_i32 s0, 0x96
	v_add_f64 v[4:5], v[4:5], v[50:51]
	v_add_f64 v[6:7], v[6:7], v[34:35]
	v_fmac_f64_e32 v[12:13], s[6:7], v[42:43]
	v_fmac_f64_e32 v[20:21], s[6:7], v[42:43]
	v_add3_u32 v24, 0, v24, v25
	v_cmp_gt_u32_e64 s[0:1], s0, v30
	ds_write_b128 v24, v[4:7]
	ds_write_b128 v24, v[12:15] offset:480
	ds_write_b128 v24, v[16:19] offset:960
	;; [unrolled: 1-line block ×4, first 2 shown]
	s_waitcnt lgkmcnt(0)
	s_barrier
	s_waitcnt lgkmcnt(0)
                                        ; implicit-def: $vgpr26_vgpr27
	s_and_saveexec_b64 s[2:3], s[0:1]
	s_cbranch_execnz .LBB0_24
; %bb.22:
	s_or_b64 exec, exec, s[2:3]
	s_and_b64 s[0:1], vcc, s[0:1]
	s_and_saveexec_b64 s[2:3], s[0:1]
	s_cbranch_execnz .LBB0_25
.LBB0_23:
	s_endpgm
.LBB0_24:
	ds_read_b128 v[4:7], v31
	ds_read_b128 v[12:15], v31 offset:2400
	ds_read_b128 v[16:19], v31 offset:4800
	;; [unrolled: 1-line block ×6, first 2 shown]
	s_or_b64 exec, exec, s[2:3]
	s_and_b64 s[0:1], vcc, s[0:1]
	s_and_saveexec_b64 s[2:3], s[0:1]
	s_cbranch_execz .LBB0_23
.LBB0_25:
	v_mul_u32_u24_e32 v31, 6, v30
	v_lshlrev_b32_e32 v31, 4, v31
	global_load_dwordx4 v[32:35], v31, s[4:5] offset:2400
	global_load_dwordx4 v[36:39], v31, s[4:5] offset:2416
	;; [unrolled: 1-line block ×6, first 2 shown]
	s_mov_b32 s4, 0xe976ee23
	s_mov_b32 s5, 0x3fe11646
	;; [unrolled: 1-line block ×12, first 2 shown]
	s_waitcnt vmcnt(5) lgkmcnt(3)
	v_mul_f64 v[56:57], v[10:11], v[34:35]
	v_mul_f64 v[34:35], v[8:9], v[34:35]
	v_fmac_f64_e32 v[56:57], v[8:9], v[32:33]
	v_fma_f64 v[8:9], v[10:11], v[32:33], -v[34:35]
	s_waitcnt vmcnt(4) lgkmcnt(2)
	v_mul_f64 v[10:11], v[22:23], v[38:39]
	v_mul_f64 v[38:39], v[20:21], v[38:39]
	s_waitcnt vmcnt(3)
	v_mul_f64 v[32:33], v[18:19], v[42:43]
	v_fmac_f64_e32 v[10:11], v[20:21], v[36:37]
	v_fma_f64 v[20:21], v[22:23], v[36:37], -v[38:39]
	v_mul_f64 v[38:39], v[16:17], v[42:43]
	s_waitcnt vmcnt(2) lgkmcnt(1)
	v_mul_f64 v[34:35], v[2:3], v[46:47]
	s_waitcnt vmcnt(1)
	v_mul_f64 v[22:23], v[14:15], v[50:51]
	s_waitcnt vmcnt(0) lgkmcnt(0)
	v_mul_f64 v[36:37], v[26:27], v[54:55]
	v_mul_f64 v[42:43], v[0:1], v[46:47]
	v_fmac_f64_e32 v[32:33], v[16:17], v[40:41]
	v_fma_f64 v[16:17], v[18:19], v[40:41], -v[38:39]
	v_mul_f64 v[18:19], v[12:13], v[50:51]
	v_mul_f64 v[38:39], v[24:25], v[54:55]
	v_fmac_f64_e32 v[34:35], v[0:1], v[44:45]
	v_fmac_f64_e32 v[22:23], v[12:13], v[48:49]
	;; [unrolled: 1-line block ×3, first 2 shown]
	v_fma_f64 v[0:1], v[2:3], v[44:45], -v[42:43]
	v_fma_f64 v[2:3], v[14:15], v[48:49], -v[18:19]
	;; [unrolled: 1-line block ×3, first 2 shown]
	v_add_f64 v[18:19], v[32:33], -v[34:35]
	v_add_f64 v[24:25], v[22:23], -v[36:37]
	v_add_f64 v[38:39], v[16:17], v[0:1]
	v_add_f64 v[40:41], v[2:3], v[12:13]
	v_add_f64 v[32:33], v[32:33], v[34:35]
	v_add_f64 v[22:23], v[22:23], v[36:37]
	v_add_f64 v[14:15], v[10:11], -v[56:57]
	v_add_f64 v[26:27], v[20:21], v[8:9]
	v_add_f64 v[10:11], v[10:11], v[56:57]
	v_add_f64 v[8:9], v[20:21], -v[8:9]
	v_add_f64 v[16:17], v[16:17], -v[0:1]
	v_add_f64 v[36:37], v[38:39], v[40:41]
	v_add_f64 v[46:47], v[32:33], v[22:23]
	v_add_f64 v[12:13], v[2:3], -v[12:13]
	v_add_f64 v[0:1], v[14:15], v[18:19]
	v_add_f64 v[2:3], v[14:15], -v[18:19]
	v_add_f64 v[20:21], v[26:27], -v[38:39]
	;; [unrolled: 1-line block ×5, first 2 shown]
	v_add_f64 v[48:49], v[8:9], v[16:17]
	v_add_f64 v[50:51], v[8:9], -v[16:17]
	v_add_f64 v[26:27], v[26:27], v[36:37]
	v_add_f64 v[10:11], v[10:11], v[46:47]
	;; [unrolled: 1-line block ×3, first 2 shown]
	v_mul_f64 v[54:55], v[2:3], s[4:5]
	v_add_f64 v[46:47], v[48:49], v[12:13]
	v_mul_f64 v[48:49], v[50:51], s[4:5]
	v_add_f64 v[2:3], v[6:7], v[26:27]
	v_add_f64 v[0:1], v[4:5], v[10:11]
	s_mov_b32 s4, 0x429ad128
	v_add_f64 v[14:15], v[24:25], -v[14:15]
	v_add_f64 v[8:9], v[12:13], -v[8:9]
	v_mul_f64 v[34:35], v[34:35], s[10:11]
	v_mul_f64 v[44:45], v[44:45], s[10:11]
	v_mov_b64_e32 v[58:59], v[2:3]
	v_mov_b64_e32 v[60:61], v[0:1]
	v_add_f64 v[18:19], v[18:19], -v[24:25]
	s_mov_b32 s5, 0xbfebfeb5
	v_mul_f64 v[56:57], v[20:21], s[6:7]
	v_mul_f64 v[36:37], v[42:43], s[6:7]
	v_fma_f64 v[50:51], s[2:3], v[14:15], v[54:55]
	v_fma_f64 v[20:21], s[6:7], v[20:21], v[34:35]
	;; [unrolled: 1-line block ×4, first 2 shown]
	v_fmac_f64_e32 v[58:59], s[12:13], v[26:27]
	v_fmac_f64_e32 v[60:61], s[12:13], v[10:11]
	v_mul_f64 v[10:11], v[18:19], s[4:5]
	s_mov_b32 s3, 0x3fd5d0dc
	v_add_f64 v[26:27], v[20:21], v[58:59]
	v_fma_f64 v[20:21], v[14:15], s[2:3], -v[10:11]
	v_add_f64 v[14:15], v[38:39], -v[40:41]
	s_mov_b32 s7, 0xbfe77f67
	s_mov_b32 s6, 0x5476071b
	v_add_f64 v[22:23], v[32:33], -v[22:23]
	v_add_f64 v[12:13], v[16:17], -v[12:13]
	v_fma_f64 v[10:11], v[14:15], s[6:7], -v[34:35]
	v_fma_f64 v[32:33], v[22:23], s[6:7], -v[44:45]
	v_mul_f64 v[16:17], v[12:13], s[4:5]
	s_mov_b32 s7, 0x3fe77f67
	v_fma_f64 v[34:35], v[8:9], s[2:3], -v[16:17]
	v_fma_f64 v[14:15], v[14:15], s[6:7], -v[56:57]
	;; [unrolled: 1-line block ×5, first 2 shown]
	v_fmac_f64_e32 v[20:21], s[0:1], v[52:53]
	v_add_f64 v[24:25], v[10:11], v[58:59]
	v_add_f64 v[32:33], v[32:33], v[60:61]
	v_fmac_f64_e32 v[34:35], s[0:1], v[46:47]
	v_add_f64 v[16:17], v[14:15], v[58:59]
	v_fmac_f64_e32 v[18:19], s[0:1], v[52:53]
	v_fmac_f64_e32 v[38:39], s[0:1], v[46:47]
	v_add_f64 v[22:23], v[12:13], v[60:61]
	v_fmac_f64_e32 v[50:51], s[0:1], v[52:53]
	v_fmac_f64_e32 v[42:43], s[0:1], v[46:47]
	v_add_f64 v[10:11], v[20:21], v[24:25]
	v_add_f64 v[8:9], v[32:33], -v[34:35]
	v_add_f64 v[14:15], v[16:17], -v[18:19]
	v_add_f64 v[12:13], v[38:39], v[22:23]
	v_add_f64 v[18:19], v[18:19], v[16:17]
	v_add_f64 v[16:17], v[22:23], -v[38:39]
	v_add_f64 v[22:23], v[24:25], -v[20:21]
	v_add_f64 v[20:21], v[34:35], v[32:33]
	v_mad_u64_u32 v[32:33], s[0:1], s8, v30, 0
	v_mov_b32_e32 v34, v33
	v_mad_u64_u32 v[34:35], s[0:1], s9, v30, v[34:35]
	v_mov_b32_e32 v33, v34
	v_lshl_add_u64 v[32:33], v[32:33], 4, v[28:29]
	global_store_dwordx4 v[32:33], v[0:3], off
	v_add_f64 v[62:63], v[6:7], v[60:61]
	v_add_f64 v[6:7], v[50:51], v[26:27]
	v_add_u32_e32 v3, 0x96, v30
	v_mad_u64_u32 v[0:1], s[0:1], s8, v3, 0
	v_mov_b32_e32 v2, v1
	v_mad_u64_u32 v[2:3], s[0:1], s9, v3, v[2:3]
	v_mov_b32_e32 v1, v2
	v_add_f64 v[26:27], v[26:27], -v[50:51]
	v_add_f64 v[24:25], v[42:43], v[62:63]
	v_lshl_add_u64 v[0:1], v[0:1], 4, v[28:29]
	v_add_u32_e32 v3, 0x12c, v30
	global_store_dwordx4 v[0:1], v[24:27], off
	v_mad_u64_u32 v[0:1], s[0:1], s8, v3, 0
	v_mov_b32_e32 v2, v1
	v_mad_u64_u32 v[2:3], s[0:1], s9, v3, v[2:3]
	v_mov_b32_e32 v1, v2
	v_lshl_add_u64 v[0:1], v[0:1], 4, v[28:29]
	v_add_u32_e32 v3, 0x1c2, v30
	global_store_dwordx4 v[0:1], v[20:23], off
	v_mad_u64_u32 v[0:1], s[0:1], s8, v3, 0
	v_mov_b32_e32 v2, v1
	v_mad_u64_u32 v[2:3], s[0:1], s9, v3, v[2:3]
	v_mov_b32_e32 v1, v2
	v_lshl_add_u64 v[0:1], v[0:1], 4, v[28:29]
	v_add_u32_e32 v3, 0x258, v30
	global_store_dwordx4 v[0:1], v[16:19], off
	v_mad_u64_u32 v[0:1], s[0:1], s8, v3, 0
	v_mov_b32_e32 v2, v1
	v_mad_u64_u32 v[2:3], s[0:1], s9, v3, v[2:3]
	v_mov_b32_e32 v1, v2
	v_lshl_add_u64 v[0:1], v[0:1], 4, v[28:29]
	v_add_u32_e32 v3, 0x2ee, v30
	global_store_dwordx4 v[0:1], v[12:15], off
	v_mad_u64_u32 v[0:1], s[0:1], s8, v3, 0
	v_mov_b32_e32 v2, v1
	v_mad_u64_u32 v[2:3], s[0:1], s9, v3, v[2:3]
	v_mov_b32_e32 v1, v2
	v_lshl_add_u64 v[0:1], v[0:1], 4, v[28:29]
	v_add_u32_e32 v3, 0x384, v30
	global_store_dwordx4 v[0:1], v[8:11], off
	v_mad_u64_u32 v[0:1], s[0:1], s8, v3, 0
	v_mov_b32_e32 v2, v1
	v_mad_u64_u32 v[2:3], s[0:1], s9, v3, v[2:3]
	v_mov_b32_e32 v1, v2
	v_add_f64 v[4:5], v[62:63], -v[42:43]
	v_lshl_add_u64 v[0:1], v[0:1], 4, v[28:29]
	global_store_dwordx4 v[0:1], v[4:7], off
	s_endpgm
	.section	.rodata,"a",@progbits
	.p2align	6, 0x0
	.amdhsa_kernel fft_rtc_back_len1050_factors_2_3_5_5_7_wgs_210_tpt_210_dp_ip_CI_sbrr_dirReg
		.amdhsa_group_segment_fixed_size 0
		.amdhsa_private_segment_fixed_size 0
		.amdhsa_kernarg_size 88
		.amdhsa_user_sgpr_count 2
		.amdhsa_user_sgpr_dispatch_ptr 0
		.amdhsa_user_sgpr_queue_ptr 0
		.amdhsa_user_sgpr_kernarg_segment_ptr 1
		.amdhsa_user_sgpr_dispatch_id 0
		.amdhsa_user_sgpr_kernarg_preload_length 0
		.amdhsa_user_sgpr_kernarg_preload_offset 0
		.amdhsa_user_sgpr_private_segment_size 0
		.amdhsa_uses_dynamic_stack 0
		.amdhsa_enable_private_segment 0
		.amdhsa_system_sgpr_workgroup_id_x 1
		.amdhsa_system_sgpr_workgroup_id_y 0
		.amdhsa_system_sgpr_workgroup_id_z 0
		.amdhsa_system_sgpr_workgroup_info 0
		.amdhsa_system_vgpr_workitem_id 0
		.amdhsa_next_free_vgpr 64
		.amdhsa_next_free_sgpr 24
		.amdhsa_accum_offset 64
		.amdhsa_reserve_vcc 1
		.amdhsa_float_round_mode_32 0
		.amdhsa_float_round_mode_16_64 0
		.amdhsa_float_denorm_mode_32 3
		.amdhsa_float_denorm_mode_16_64 3
		.amdhsa_dx10_clamp 1
		.amdhsa_ieee_mode 1
		.amdhsa_fp16_overflow 0
		.amdhsa_tg_split 0
		.amdhsa_exception_fp_ieee_invalid_op 0
		.amdhsa_exception_fp_denorm_src 0
		.amdhsa_exception_fp_ieee_div_zero 0
		.amdhsa_exception_fp_ieee_overflow 0
		.amdhsa_exception_fp_ieee_underflow 0
		.amdhsa_exception_fp_ieee_inexact 0
		.amdhsa_exception_int_div_zero 0
	.end_amdhsa_kernel
	.text
.Lfunc_end0:
	.size	fft_rtc_back_len1050_factors_2_3_5_5_7_wgs_210_tpt_210_dp_ip_CI_sbrr_dirReg, .Lfunc_end0-fft_rtc_back_len1050_factors_2_3_5_5_7_wgs_210_tpt_210_dp_ip_CI_sbrr_dirReg
                                        ; -- End function
	.section	.AMDGPU.csdata,"",@progbits
; Kernel info:
; codeLenInByte = 5240
; NumSgprs: 30
; NumVgprs: 64
; NumAgprs: 0
; TotalNumVgprs: 64
; ScratchSize: 0
; MemoryBound: 1
; FloatMode: 240
; IeeeMode: 1
; LDSByteSize: 0 bytes/workgroup (compile time only)
; SGPRBlocks: 3
; VGPRBlocks: 7
; NumSGPRsForWavesPerEU: 30
; NumVGPRsForWavesPerEU: 64
; AccumOffset: 64
; Occupancy: 8
; WaveLimiterHint : 1
; COMPUTE_PGM_RSRC2:SCRATCH_EN: 0
; COMPUTE_PGM_RSRC2:USER_SGPR: 2
; COMPUTE_PGM_RSRC2:TRAP_HANDLER: 0
; COMPUTE_PGM_RSRC2:TGID_X_EN: 1
; COMPUTE_PGM_RSRC2:TGID_Y_EN: 0
; COMPUTE_PGM_RSRC2:TGID_Z_EN: 0
; COMPUTE_PGM_RSRC2:TIDIG_COMP_CNT: 0
; COMPUTE_PGM_RSRC3_GFX90A:ACCUM_OFFSET: 15
; COMPUTE_PGM_RSRC3_GFX90A:TG_SPLIT: 0
	.text
	.p2alignl 6, 3212836864
	.fill 256, 4, 3212836864
	.type	__hip_cuid_9379327cd32f3747,@object ; @__hip_cuid_9379327cd32f3747
	.section	.bss,"aw",@nobits
	.globl	__hip_cuid_9379327cd32f3747
__hip_cuid_9379327cd32f3747:
	.byte	0                               ; 0x0
	.size	__hip_cuid_9379327cd32f3747, 1

	.ident	"AMD clang version 19.0.0git (https://github.com/RadeonOpenCompute/llvm-project roc-6.4.0 25133 c7fe45cf4b819c5991fe208aaa96edf142730f1d)"
	.section	".note.GNU-stack","",@progbits
	.addrsig
	.addrsig_sym __hip_cuid_9379327cd32f3747
	.amdgpu_metadata
---
amdhsa.kernels:
  - .agpr_count:     0
    .args:
      - .actual_access:  read_only
        .address_space:  global
        .offset:         0
        .size:           8
        .value_kind:     global_buffer
      - .offset:         8
        .size:           8
        .value_kind:     by_value
      - .actual_access:  read_only
        .address_space:  global
        .offset:         16
        .size:           8
        .value_kind:     global_buffer
      - .actual_access:  read_only
        .address_space:  global
        .offset:         24
        .size:           8
        .value_kind:     global_buffer
      - .offset:         32
        .size:           8
        .value_kind:     by_value
      - .actual_access:  read_only
        .address_space:  global
        .offset:         40
        .size:           8
        .value_kind:     global_buffer
      - .actual_access:  read_only
        .address_space:  global
        .offset:         48
        .size:           8
        .value_kind:     global_buffer
      - .offset:         56
        .size:           4
        .value_kind:     by_value
      - .actual_access:  read_only
        .address_space:  global
        .offset:         64
        .size:           8
        .value_kind:     global_buffer
      - .actual_access:  read_only
        .address_space:  global
        .offset:         72
        .size:           8
        .value_kind:     global_buffer
      - .address_space:  global
        .offset:         80
        .size:           8
        .value_kind:     global_buffer
    .group_segment_fixed_size: 0
    .kernarg_segment_align: 8
    .kernarg_segment_size: 88
    .language:       OpenCL C
    .language_version:
      - 2
      - 0
    .max_flat_workgroup_size: 210
    .name:           fft_rtc_back_len1050_factors_2_3_5_5_7_wgs_210_tpt_210_dp_ip_CI_sbrr_dirReg
    .private_segment_fixed_size: 0
    .sgpr_count:     30
    .sgpr_spill_count: 0
    .symbol:         fft_rtc_back_len1050_factors_2_3_5_5_7_wgs_210_tpt_210_dp_ip_CI_sbrr_dirReg.kd
    .uniform_work_group_size: 1
    .uses_dynamic_stack: false
    .vgpr_count:     64
    .vgpr_spill_count: 0
    .wavefront_size: 64
amdhsa.target:   amdgcn-amd-amdhsa--gfx950
amdhsa.version:
  - 1
  - 2
...

	.end_amdgpu_metadata
